;; amdgpu-corpus repo=zjin-lcf/HeCBench kind=compiled arch=gfx906 opt=O3
	.amdgcn_target "amdgcn-amd-amdhsa--gfx906"
	.amdhsa_code_object_version 6
	.text
	.protected	_Z13maskSequencesPhPKdPKhiiddddddi ; -- Begin function _Z13maskSequencesPhPKdPKhiiddddddi
	.globl	_Z13maskSequencesPhPKdPKhiiddddddi
	.p2align	8
	.type	_Z13maskSequencesPhPKdPKhiiddddddi,@function
_Z13maskSequencesPhPKdPKhiiddddddi:     ; @_Z13maskSequencesPhPKdPKhiiddddddi
; %bb.0:
	s_add_u32 s0, s0, s7
	s_load_dword s7, s[4:5], 0x64
	s_load_dword s8, s[4:5], 0x50
	s_addc_u32 s1, s1, 0
	s_waitcnt lgkmcnt(0)
	s_and_b32 s7, s7, 0xffff
	s_mul_i32 s6, s6, s7
	v_add_u32_e32 v10, s6, v0
	v_cmp_gt_i32_e32 vcc, s8, v10
	s_and_saveexec_b64 s[6:7], vcc
	s_cbranch_execz .LBB0_46
; %bb.1:
	s_load_dwordx2 s[6:7], s[4:5], 0x30
	s_load_dwordx2 s[16:17], s[4:5], 0x18
	s_load_dwordx4 s[12:15], s[4:5], 0x20
	s_waitcnt lgkmcnt(0)
	v_div_scale_f64 v[0:1], s[8:9], s[6:7], s[6:7], 1.0
	v_div_scale_f64 v[6:7], vcc, 1.0, s[6:7], 1.0
	v_rcp_f64_e32 v[2:3], v[0:1]
	v_fma_f64 v[4:5], -v[0:1], v[2:3], 1.0
	v_fma_f64 v[2:3], v[2:3], v[4:5], v[2:3]
	v_fma_f64 v[4:5], -v[0:1], v[2:3], 1.0
	v_fma_f64 v[2:3], v[2:3], v[4:5], v[2:3]
	v_mul_f64 v[4:5], v[6:7], v[2:3]
	v_fma_f64 v[0:1], -v[0:1], v[4:5], v[6:7]
	v_div_fmas_f64 v[0:1], v[0:1], v[2:3], v[4:5]
	v_cvt_f64_i32_e32 v[2:3], s17
	v_div_fixup_f64 v[0:1], v[0:1], s[6:7], 1.0
	v_cmp_nlg_f64_e32 vcc, 1.0, v[0:1]
	s_cbranch_vccnz .LBB0_27
; %bb.2:
	s_cmp_lg_u32 s17, 0
	v_mov_b32_e32 v11, 0x3ff00000
	s_cselect_b64 vcc, -1, 0
	v_cndmask_b32_e32 v5, v11, v1, vcc
	v_cndmask_b32_e32 v4, 0, v0, vcc
	v_frexp_mant_f64_e64 v[6:7], |v[4:5]|
	s_mov_b32 s7, 0x3fe55555
	s_mov_b32 s6, 0x55555555
	;; [unrolled: 1-line block ×4, first 2 shown]
	s_movk_i32 s20, 0x204
	s_mov_b32 s10, 0x652b82fe
	s_mov_b32 s11, 0x3ff71547
	v_cmp_gt_f64_e32 vcc, s[6:7], v[6:7]
	v_cmp_class_f64_e64 s[18:19], v[4:5], s20
	v_cndmask_b32_e64 v8, 0, 1, vcc
	v_ldexp_f64 v[6:7], v[6:7], v8
	v_add_f64 v[8:9], v[6:7], 1.0
	v_add_f64 v[16:17], v[6:7], -1.0
	v_rcp_f64_e32 v[12:13], v[8:9]
	v_add_f64 v[18:19], v[8:9], -1.0
	v_add_f64 v[6:7], v[6:7], -v[18:19]
	v_fma_f64 v[14:15], -v[8:9], v[12:13], 1.0
	v_fma_f64 v[12:13], v[14:15], v[12:13], v[12:13]
	v_fma_f64 v[14:15], -v[8:9], v[12:13], 1.0
	v_fma_f64 v[12:13], v[14:15], v[12:13], v[12:13]
	v_mul_f64 v[14:15], v[16:17], v[12:13]
	v_mul_f64 v[20:21], v[8:9], v[14:15]
	v_fma_f64 v[8:9], v[14:15], v[8:9], -v[20:21]
	v_fma_f64 v[6:7], v[14:15], v[6:7], v[8:9]
	v_add_f64 v[8:9], v[20:21], v[6:7]
	v_add_f64 v[18:19], v[16:17], -v[8:9]
	v_add_f64 v[20:21], v[8:9], -v[20:21]
	;; [unrolled: 1-line block ×5, first 2 shown]
	v_add_f64 v[6:7], v[6:7], v[8:9]
	v_add_f64 v[6:7], v[18:19], v[6:7]
	v_mov_b32_e32 v18, 0x968915a9
	v_mov_b32_e32 v19, 0x3fba6564
	v_mul_f64 v[6:7], v[12:13], v[6:7]
	v_add_f64 v[8:9], v[14:15], v[6:7]
	v_add_f64 v[12:13], v[8:9], -v[14:15]
	v_mul_f64 v[14:15], v[8:9], v[8:9]
	v_add_f64 v[6:7], v[6:7], -v[12:13]
	v_fma_f64 v[12:13], v[8:9], v[8:9], -v[14:15]
	v_add_f64 v[16:17], v[6:7], v[6:7]
	v_fma_f64 v[12:13], v[8:9], v[16:17], v[12:13]
	v_add_f64 v[16:17], v[14:15], v[12:13]
	v_fma_f64 v[18:19], v[16:17], s[8:9], v[18:19]
	s_mov_b32 s8, 0x3abe935a
	s_mov_b32 s9, 0x3fbe25e4
	v_add_f64 v[14:15], v[16:17], -v[14:15]
	v_mul_f64 v[24:25], v[8:9], v[16:17]
	v_fma_f64 v[18:19], v[16:17], v[18:19], s[8:9]
	s_mov_b32 s8, 0x47e6c9c2
	s_mov_b32 s9, 0x3fc110ef
	v_add_f64 v[12:13], v[12:13], -v[14:15]
	v_fma_f64 v[18:19], v[16:17], v[18:19], s[8:9]
	s_mov_b32 s8, 0xcfa74449
	s_mov_b32 s9, 0x3fc3b13b
	v_fma_f64 v[18:19], v[16:17], v[18:19], s[8:9]
	s_mov_b32 s8, 0x71bf3c30
	s_mov_b32 s9, 0x3fc745d1
	v_fma_f64 v[18:19], v[16:17], v[18:19], s[8:9]
	s_mov_b32 s8, 0x1c7792ce
	s_mov_b32 s9, 0x3fcc71c7
	v_fma_f64 v[18:19], v[16:17], v[18:19], s[8:9]
	s_mov_b32 s8, 0x924920da
	s_mov_b32 s9, 0x3fd24924
	v_fma_f64 v[18:19], v[16:17], v[18:19], s[8:9]
	s_mov_b32 s8, 0x9999999c
	s_mov_b32 s9, 0x3fd99999
	v_fma_f64 v[18:19], v[16:17], v[18:19], s[8:9]
	s_mov_b32 s9, 0x3c7abc9e
	s_mov_b32 s8, 0x3b39803f
	v_mul_f64 v[20:21], v[16:17], v[18:19]
	v_fma_f64 v[14:15], v[16:17], v[18:19], -v[20:21]
	v_fma_f64 v[14:15], v[12:13], v[18:19], v[14:15]
	v_add_f64 v[18:19], v[20:21], v[14:15]
	v_add_f64 v[22:23], v[18:19], s[6:7]
	v_add_f64 v[20:21], v[18:19], -v[20:21]
	s_mov_b32 s7, 0xbfe55555
	v_add_f64 v[26:27], v[22:23], s[6:7]
	v_add_f64 v[14:15], v[14:15], -v[20:21]
	v_fma_f64 v[20:21], v[16:17], v[8:9], -v[24:25]
	s_mov_b32 s6, 0xd5df274d
	s_mov_b32 s7, 0x3c8543b0
	v_add_f64 v[18:19], v[18:19], -v[26:27]
	v_add_f64 v[14:15], v[14:15], s[6:7]
	v_fma_f64 v[16:17], v[16:17], v[6:7], v[20:21]
	s_mov_b32 s7, 0x3fe62e42
	s_mov_b32 s6, 0xfefa39ef
	v_ldexp_f64 v[6:7], v[6:7], 1
	v_add_f64 v[14:15], v[14:15], v[18:19]
	v_fma_f64 v[12:13], v[12:13], v[8:9], v[16:17]
	v_ldexp_f64 v[8:9], v[8:9], 1
	v_add_f64 v[16:17], v[22:23], v[14:15]
	v_add_f64 v[18:19], v[24:25], v[12:13]
	v_add_f64 v[20:21], v[22:23], -v[16:17]
	v_mul_f64 v[22:23], v[18:19], v[16:17]
	v_add_f64 v[24:25], v[18:19], -v[24:25]
	v_add_f64 v[14:15], v[14:15], v[20:21]
	v_fma_f64 v[20:21], v[18:19], v[16:17], -v[22:23]
	v_add_f64 v[12:13], v[12:13], -v[24:25]
	v_fma_f64 v[14:15], v[18:19], v[14:15], v[20:21]
	v_fma_f64 v[12:13], v[12:13], v[16:17], v[14:15]
	v_frexp_exp_i32_f64_e32 v16, v[4:5]
	v_add_f64 v[14:15], v[22:23], v[12:13]
	v_subbrev_co_u32_e32 v20, vcc, 0, v16, vcc
	v_cvt_f64_i32_e32 v[20:21], v20
	v_add_f64 v[16:17], v[8:9], v[14:15]
	v_add_f64 v[18:19], v[14:15], -v[22:23]
	v_mul_f64 v[22:23], v[20:21], s[6:7]
	v_add_f64 v[8:9], v[16:17], -v[8:9]
	v_add_f64 v[12:13], v[12:13], -v[18:19]
	v_fma_f64 v[18:19], v[20:21], s[6:7], -v[22:23]
	s_mov_b32 s7, 0xbfe62e42
	v_add_f64 v[8:9], v[14:15], -v[8:9]
	v_add_f64 v[6:7], v[6:7], v[12:13]
	v_fma_f64 v[12:13], v[20:21], s[8:9], v[18:19]
	s_mov_b32 s9, 0xbc7abc9e
	v_add_f64 v[6:7], v[6:7], v[8:9]
	v_add_f64 v[8:9], v[22:23], v[12:13]
	;; [unrolled: 1-line block ×3, first 2 shown]
	v_add_f64 v[22:23], v[8:9], -v[22:23]
	v_add_f64 v[18:19], v[8:9], v[14:15]
	v_add_f64 v[16:17], v[14:15], -v[16:17]
	v_add_f64 v[12:13], v[12:13], -v[22:23]
	v_add_f64 v[20:21], v[18:19], -v[8:9]
	v_add_f64 v[6:7], v[6:7], -v[16:17]
	v_add_f64 v[24:25], v[18:19], -v[20:21]
	v_add_f64 v[14:15], v[14:15], -v[20:21]
	v_add_f64 v[16:17], v[12:13], v[6:7]
	v_add_f64 v[8:9], v[8:9], -v[24:25]
	v_add_f64 v[8:9], v[14:15], v[8:9]
	v_add_f64 v[14:15], v[16:17], -v[12:13]
	;; [unrolled: 2-line block ×3, first 2 shown]
	v_add_f64 v[6:7], v[6:7], -v[14:15]
	v_add_f64 v[20:21], v[18:19], v[8:9]
	v_add_f64 v[12:13], v[12:13], -v[16:17]
	v_add_f64 v[14:15], v[20:21], -v[18:19]
	v_add_f64 v[6:7], v[6:7], v[12:13]
	v_add_f64 v[8:9], v[8:9], -v[14:15]
	v_add_f64 v[6:7], v[6:7], v[8:9]
	v_add_f64 v[8:9], v[20:21], v[6:7]
	v_add_f64 v[12:13], v[8:9], -v[20:21]
	v_mul_f64 v[14:15], v[8:9], v[2:3]
	v_mov_b32_e32 v20, 0xfca7ab0c
	v_mov_b32_e32 v21, 0x3e928af3
	v_add_f64 v[6:7], v[6:7], -v[12:13]
	v_fma_f64 v[8:9], v[2:3], v[8:9], -v[14:15]
	v_cmp_class_f64_e64 vcc, v[14:15], s20
	v_fma_f64 v[6:7], v[2:3], v[6:7], v[8:9]
	v_add_f64 v[8:9], v[14:15], v[6:7]
	v_cndmask_b32_e32 v13, v9, v15, vcc
	v_cndmask_b32_e32 v12, v8, v14, vcc
	v_mul_f64 v[16:17], v[12:13], s[10:11]
	v_add_f64 v[8:9], v[8:9], -v[14:15]
	s_mov_b32 s10, 0
	s_mov_b32 s11, 0xc090cc00
	v_rndne_f64_e32 v[16:17], v[16:17]
	v_add_f64 v[6:7], v[6:7], -v[8:9]
	v_fma_f64 v[18:19], v[16:17], s[6:7], v[12:13]
	s_mov_b32 s6, 0x6a5dcb37
	s_mov_b32 s7, 0x3e5ade15
	v_fma_f64 v[18:19], v[16:17], s[8:9], v[18:19]
	v_cvt_i32_f64_e32 v16, v[16:17]
	s_mov_b32 s8, 0
	s_mov_b32 s9, 0x40900000
	v_fma_f64 v[20:21], v[18:19], s[6:7], v[20:21]
	s_mov_b32 s6, 0x623fde64
	s_mov_b32 s7, 0x3ec71dee
	v_fma_f64 v[20:21], v[18:19], v[20:21], s[6:7]
	;; [unrolled: 3-line block ×9, first 2 shown]
	s_mov_b32 s6, 0
	s_mov_b32 s7, 0x7ff00000
	v_cmp_neq_f64_e64 vcc, |v[12:13]|, s[6:7]
	v_cmp_nlt_f64_e64 s[6:7], s[8:9], v[12:13]
	v_cmp_ngt_f64_e64 s[8:9], s[10:11], v[12:13]
	v_add_f64 v[12:13], -v[0:1], 1.0
	v_fma_f64 v[20:21], v[18:19], v[20:21], 1.0
	v_cndmask_b32_e32 v7, 0, v7, vcc
	v_cndmask_b32_e32 v6, 0, v6, vcc
	s_and_b64 vcc, s[8:9], s[6:7]
	v_fma_f64 v[18:19], v[18:19], v[20:21], 1.0
	v_mul_f64 v[20:21], v[2:3], 0.5
	v_ldexp_f64 v[14:15], v[18:19], v16
	v_mov_b32_e32 v18, 0x7ff00000
	v_trunc_f64_e32 v[16:17], v[20:21]
	v_cndmask_b32_e64 v8, v18, v15, s[6:7]
	v_cndmask_b32_e64 v9, 0, v8, s[8:9]
	v_cndmask_b32_e32 v8, 0, v14, vcc
	v_fma_f64 v[6:7], v[8:9], v[6:7], v[8:9]
	v_cmp_class_f64_e64 vcc, v[8:9], s20
	v_cmp_eq_f64_e64 s[6:7], 0, v[4:5]
	v_cmp_neq_f64_e64 s[10:11], v[16:17], v[20:21]
	s_brev_b32 s20, -2
	v_cndmask_b32_e32 v6, v6, v8, vcc
	v_cndmask_b32_e32 v7, v7, v9, vcc
	s_or_b64 vcc, s[6:7], s[18:19]
	s_cmp_lt_i32 s17, 0
	s_cselect_b64 s[8:9], -1, 0
	s_xor_b64 s[6:7], s[8:9], s[6:7]
	s_and_b64 s[6:7], s[6:7], exec
	v_cndmask_b32_e64 v4, v11, v5, s[10:11]
	s_cselect_b32 s6, 0, 0x7ff00000
	v_cndmask_b32_e64 v5, 0, v5, s[10:11]
	v_bfi_b32 v7, s20, v7, v4
	v_cndmask_b32_e64 v4, v6, 0, vcc
	v_mov_b32_e32 v6, s6
	v_bfi_b32 v5, s20, v6, v5
	v_cndmask_b32_e32 v5, v7, v5, vcc
	v_add_f64 v[4:5], -v[4:5], 1.0
	v_div_scale_f64 v[6:7], s[6:7], v[4:5], v[4:5], v[12:13]
	v_div_scale_f64 v[16:17], vcc, v[12:13], v[4:5], v[12:13]
	v_rcp_f64_e32 v[8:9], v[6:7]
	v_fma_f64 v[14:15], -v[6:7], v[8:9], 1.0
	v_fma_f64 v[8:9], v[8:9], v[14:15], v[8:9]
	v_fma_f64 v[14:15], -v[6:7], v[8:9], 1.0
	v_fma_f64 v[8:9], v[8:9], v[14:15], v[8:9]
	v_mul_f64 v[14:15], v[16:17], v[8:9]
	v_fma_f64 v[6:7], -v[6:7], v[14:15], v[16:17]
	v_div_fmas_f64 v[6:7], v[6:7], v[8:9], v[14:15]
	v_div_fixup_f64 v[4:5], v[6:7], v[4:5], v[12:13]
	s_cbranch_execnz .LBB0_4
.LBB0_3:
	v_div_scale_f64 v[4:5], s[6:7], v[2:3], v[2:3], 1.0
	v_div_scale_f64 v[11:12], vcc, 1.0, v[2:3], 1.0
	v_rcp_f64_e32 v[6:7], v[4:5]
	v_fma_f64 v[8:9], -v[4:5], v[6:7], 1.0
	v_fma_f64 v[6:7], v[6:7], v[8:9], v[6:7]
	v_fma_f64 v[8:9], -v[4:5], v[6:7], 1.0
	v_fma_f64 v[6:7], v[6:7], v[8:9], v[6:7]
	v_mul_f64 v[8:9], v[11:12], v[6:7]
	v_fma_f64 v[4:5], -v[4:5], v[8:9], v[11:12]
	v_div_fmas_f64 v[4:5], v[4:5], v[6:7], v[8:9]
	v_div_fixup_f64 v[4:5], v[4:5], v[2:3], 1.0
.LBB0_4:
	s_cmp_gt_i32 s17, 0
	s_cselect_b64 s[18:19], -1, 0
	s_cmp_lt_i32 s17, 1
	s_mov_b64 s[8:9], -1
	s_cbranch_scc0 .LBB0_6
; %bb.5:
	s_mov_b64 s[8:9], 0
.LBB0_6:
	v_mul_f64 v[6:7], s[12:13], v[4:5]
	s_load_dwordx2 s[6:7], s[4:5], 0x8
	s_andn2_b64 vcc, exec, s[8:9]
	s_cbranch_vccnz .LBB0_11
; %bb.7:
	v_mov_b32_e32 v2, v6
	s_movk_i32 s8, 0x90
	s_mov_b32 s9, s17
	v_mov_b32_e32 v3, v7
.LBB0_8:                                ; =>This Inner Loop Header: Depth=1
	v_mov_b32_e32 v4, s8
	buffer_store_dword v3, v4, s[0:3], 0 offen offset:4
	buffer_store_dword v2, v4, s[0:3], 0 offen
	v_mul_f64 v[2:3], v[0:1], v[2:3]
	s_add_i32 s9, s9, -1
	s_add_i32 s8, s8, 8
	s_cmp_eq_u32 s9, 0
	s_cbranch_scc0 .LBB0_8
; %bb.9:
	s_movk_i32 s8, 0x230
	v_mov_b32_e32 v0, 0
	s_mov_b32 s9, s17
.LBB0_10:                               ; =>This Inner Loop Header: Depth=1
	v_mov_b32_e32 v1, s8
	s_add_i32 s9, s9, -1
	s_add_i32 s8, s8, 8
	s_cmp_eq_u32 s9, 0
	buffer_store_dword v0, v1, s[0:3], 0 offen offset:4
	buffer_store_dword v0, v1, s[0:3], 0 offen
	s_cbranch_scc0 .LBB0_10
.LBB0_11:
	v_add_f64 v[2:3], -s[12:13], 1.0
	v_add_f64 v[4:5], -s[14:15], 1.0
	s_load_dwordx2 s[10:11], s[4:5], 0x0
	s_load_dwordx2 s[8:9], s[4:5], 0x10
	v_lshl_add_u32 v14, v10, 5, v10
	v_ashrrev_i32_e32 v15, 31, v14
	v_mov_b32_e32 v8, 0
	s_waitcnt lgkmcnt(0)
	v_mov_b32_e32 v1, s11
	v_add_co_u32_e32 v0, vcc, s10, v14
	s_cmp_gt_i32 s16, 0
	v_addc_co_u32_e32 v1, vcc, v1, v15, vcc
	v_mov_b32_e32 v9, 0x3ff00000
	s_cselect_b64 s[4:5], -1, 0
	s_cmp_lt_i32 s16, 1
	s_mov_b32 s12, 0
	s_cbranch_scc1 .LBB0_23
; %bb.12:
	s_lshl_b32 s13, s17, 3
	v_mov_b32_e32 v8, 0
	s_addk_i32 s13, 0x90
	v_mov_b32_e32 v9, 0x3ff00000
	v_mov_b32_e32 v11, 0
	s_branch .LBB0_15
.LBB0_13:                               ;   in Loop: Header=BB0_15 Depth=1
	v_mov_b32_e32 v8, 0
	v_mov_b32_e32 v9, 0x3ff00000
.LBB0_14:                               ;   in Loop: Header=BB0_15 Depth=1
	v_cvt_f32_f64_e32 v10, v[8:9]
	s_lshl_b32 s20, s12, 2
	s_add_i32 s12, s12, 1
	v_mov_b32_e32 v12, s20
	s_cmp_eq_u32 s12, s16
	buffer_store_dword v10, v12, s[0:3], 0 offen
	s_cbranch_scc1 .LBB0_23
.LBB0_15:                               ; =>This Loop Header: Depth=1
                                        ;     Child Loop BB0_17 Depth 2
                                        ;     Child Loop BB0_22 Depth 2
	s_min_i32 s20, s17, s12
	s_cmp_eq_u32 s12, 0
	s_cbranch_scc1 .LBB0_18
; %bb.16:                               ;   in Loop: Header=BB0_15 Depth=1
	v_add_co_u32_e32 v12, vcc, s12, v0
	v_addc_co_u32_e32 v13, vcc, 0, v1, vcc
	global_load_ubyte v10, v[12:13], off
	s_lshl_b32 s22, s20, 3
	v_mov_b32_e32 v12, 0
	s_sub_i32 s21, s13, s22
	s_addk_i32 s22, 0x230
	s_sub_i32 s23, s12, s20
	v_mov_b32_e32 v13, 0
	s_mov_b32 s24, 0
	s_waitcnt vmcnt(0)
	v_mul_lo_u32 v16, s16, v10
.LBB0_17:                               ;   Parent Loop BB0_15 Depth=1
                                        ; =>  This Inner Loop Header: Depth=2
	s_add_i32 s25, s23, s24
	s_ashr_i32 s26, s25, 31
	v_mov_b32_e32 v10, s26
	v_add_co_u32_e32 v17, vcc, s25, v0
	v_addc_co_u32_e32 v18, vcc, v1, v10, vcc
	global_load_ubyte v10, v[17:18], off
	s_not_b32 s25, s24
	s_lshl_b32 s25, s25, 3
	v_mov_b32_e32 v21, s21
	s_add_i32 s25, s22, s25
	v_mov_b32_e32 v23, s25
	buffer_load_dword v17, v21, s[0:3], 0 offen
	buffer_load_dword v18, v21, s[0:3], 0 offen offset:4
	buffer_load_dword v19, v23, s[0:3], 0 offen
	buffer_load_dword v20, v23, s[0:3], 0 offen offset:4
	v_mov_b32_e32 v24, s7
	s_add_i32 s24, s24, 1
	s_add_i32 s21, s21, 8
	s_cmp_eq_u32 s12, s24
	s_waitcnt vmcnt(4)
	v_add_u32_e32 v10, v16, v10
	v_lshlrev_b64 v[21:22], 3, v[10:11]
	v_add_co_u32_e32 v21, vcc, s6, v21
	v_addc_co_u32_e32 v22, vcc, v24, v22, vcc
	global_load_dwordx2 v[21:22], v[21:22], off
	s_waitcnt vmcnt(3)
	v_mul_f64 v[17:18], v[8:9], v[17:18]
	s_waitcnt vmcnt(1)
	v_add_f64 v[12:13], v[12:13], v[19:20]
	v_fma_f64 v[17:18], v[4:5], v[19:20], v[17:18]
	s_waitcnt vmcnt(0)
	v_mul_f64 v[17:18], v[21:22], v[17:18]
	buffer_store_dword v17, v23, s[0:3], 0 offen
	buffer_store_dword v18, v23, s[0:3], 0 offen offset:4
	s_cbranch_scc0 .LBB0_17
	s_branch .LBB0_19
.LBB0_18:                               ;   in Loop: Header=BB0_15 Depth=1
	v_mov_b32_e32 v12, 0
	v_mov_b32_e32 v13, 0
.LBB0_19:                               ;   in Loop: Header=BB0_15 Depth=1
	v_mul_f64 v[12:13], s[14:15], v[12:13]
	s_and_b32 s21, s12, 15
	s_cmp_eq_u32 s21, 15
	v_fma_f64 v[8:9], v[2:3], v[8:9], v[12:13]
	s_cbranch_scc0 .LBB0_14
; %bb.20:                               ;   in Loop: Header=BB0_15 Depth=1
	v_div_scale_f64 v[12:13], s[22:23], v[8:9], v[8:9], 1.0
	s_lshr_b32 s21, s12, 1
	s_and_b32 s21, s21, 0x7ffffff8
	v_rcp_f64_e32 v[16:17], v[12:13]
	v_fma_f64 v[18:19], -v[12:13], v[16:17], 1.0
	v_fma_f64 v[16:17], v[16:17], v[18:19], v[16:17]
	v_div_scale_f64 v[18:19], vcc, 1.0, v[8:9], 1.0
	v_fma_f64 v[20:21], -v[12:13], v[16:17], 1.0
	v_fma_f64 v[16:17], v[16:17], v[20:21], v[16:17]
	v_mul_f64 v[20:21], v[18:19], v[16:17]
	v_fma_f64 v[12:13], -v[12:13], v[20:21], v[18:19]
	v_div_fmas_f64 v[12:13], v[12:13], v[16:17], v[20:21]
	s_andn2_b64 vcc, exec, s[18:19]
	v_div_fixup_f64 v[8:9], v[12:13], v[8:9], 1.0
	v_mov_b32_e32 v12, 0x220
	v_add_u32_e32 v10, s21, v12
	buffer_store_dword v9, v10, s[0:3], 0 offen offset:4
	buffer_store_dword v8, v10, s[0:3], 0 offen
	s_cbranch_vccnz .LBB0_13
; %bb.21:                               ;   in Loop: Header=BB0_15 Depth=1
	s_max_i32 s20, s20, 1
	s_movk_i32 s21, 0x230
.LBB0_22:                               ;   Parent Loop BB0_15 Depth=1
                                        ; =>  This Inner Loop Header: Depth=2
	v_mov_b32_e32 v10, s21
	buffer_load_dword v12, v10, s[0:3], 0 offen
	buffer_load_dword v13, v10, s[0:3], 0 offen offset:4
	s_add_i32 s21, s21, 8
	s_add_i32 s20, s20, -1
	s_cmp_lg_u32 s20, 0
	s_waitcnt vmcnt(0)
	v_mul_f64 v[12:13], v[8:9], v[12:13]
	buffer_store_dword v12, v10, s[0:3], 0 offen
	buffer_store_dword v13, v10, s[0:3], 0 offen offset:4
	s_cbranch_scc1 .LBB0_22
	s_branch .LBB0_13
.LBB0_23:
	s_andn2_b64 vcc, exec, s[18:19]
	s_cbranch_vccnz .LBB0_28
; %bb.24:
	v_mov_b32_e32 v10, 0
	s_movk_i32 s12, 0x230
	v_mov_b32_e32 v11, 0
	v_mov_b32_e32 v12, s14
	;; [unrolled: 1-line block ×3, first 2 shown]
	s_mov_b32 s13, s17
.LBB0_25:                               ; =>This Inner Loop Header: Depth=1
	v_mov_b32_e32 v18, s12
	buffer_load_dword v16, v18, s[0:3], 0 offen
	buffer_load_dword v17, v18, s[0:3], 0 offen offset:4
	s_add_i32 s12, s12, 8
	s_add_i32 s13, s13, -1
	s_cmp_eq_u32 s13, 0
	buffer_store_dword v12, v18, s[0:3], 0 offen
	buffer_store_dword v13, v18, s[0:3], 0 offen offset:4
	s_waitcnt vmcnt(2)
	v_add_f64 v[10:11], v[10:11], v[16:17]
	s_cbranch_scc0 .LBB0_25
; %bb.26:
	s_andn2_b64 vcc, exec, s[4:5]
	s_cbranch_vccz .LBB0_29
	s_branch .LBB0_46
.LBB0_27:
                                        ; implicit-def: $vgpr4_vgpr5
	s_branch .LBB0_3
.LBB0_28:
	v_mov_b32_e32 v10, 0
	v_mov_b32_e32 v11, 0
	s_andn2_b64 vcc, exec, s[4:5]
	s_cbranch_vccnz .LBB0_46
.LBB0_29:
	v_mul_f64 v[10:11], s[14:15], v[10:11]
	v_div_scale_f64 v[12:13], s[4:5], v[6:7], v[6:7], 1.0
	v_fma_f64 v[8:9], v[2:3], v[8:9], v[10:11]
	v_div_scale_f64 v[10:11], s[4:5], v[8:9], v[8:9], 1.0
	v_rcp_f64_e32 v[18:19], v[12:13]
	v_div_scale_f64 v[24:25], s[4:5], 1.0, v[6:7], 1.0
	v_rcp_f64_e32 v[16:17], v[10:11]
	v_fma_f64 v[22:23], -v[12:13], v[18:19], 1.0
	v_fma_f64 v[18:19], v[18:19], v[22:23], v[18:19]
	v_fma_f64 v[20:21], -v[10:11], v[16:17], 1.0
	v_fma_f64 v[26:27], -v[12:13], v[18:19], 1.0
	v_fma_f64 v[16:17], v[16:17], v[20:21], v[16:17]
	v_div_scale_f64 v[20:21], vcc, 1.0, v[8:9], 1.0
	v_fma_f64 v[18:19], v[18:19], v[26:27], v[18:19]
	v_fma_f64 v[22:23], -v[10:11], v[16:17], 1.0
	v_mul_f64 v[26:27], v[24:25], v[18:19]
	v_fma_f64 v[16:17], v[16:17], v[22:23], v[16:17]
	v_fma_f64 v[12:13], -v[12:13], v[26:27], v[24:25]
	v_mul_f64 v[22:23], v[20:21], v[16:17]
	v_fma_f64 v[10:11], -v[10:11], v[22:23], v[20:21]
	v_div_fmas_f64 v[10:11], v[10:11], v[16:17], v[22:23]
	s_mov_b64 vcc, s[4:5]
	v_div_fmas_f64 v[12:13], v[12:13], v[18:19], v[26:27]
	s_add_i32 s4, s16, -1
	s_ashr_i32 s5, s16, 31
	s_add_u32 s10, s10, s16
	s_addc_u32 s5, s11, s5
	v_mov_b32_e32 v16, s5
	v_add_co_u32_e32 v14, vcc, s10, v14
	v_addc_co_u32_e32 v15, vcc, v16, v15, vcc
	s_movk_i32 s5, 0x88
	s_mov_b32 s10, s16
	v_div_fixup_f64 v[8:9], v[10:11], v[8:9], 1.0
	v_add_co_u32_e32 v10, vcc, -2, v14
	v_div_fixup_f64 v[6:7], v[12:13], v[6:7], 1.0
	v_addc_co_u32_e32 v11, vcc, -1, v15, vcc
	v_mov_b32_e32 v15, v3
	v_mov_b32_e32 v13, 0
	;; [unrolled: 1-line block ×3, first 2 shown]
	s_branch .LBB0_31
.LBB0_30:                               ;   in Loop: Header=BB0_31 Depth=1
	v_mul_f64 v[16:17], v[16:17], v[18:19]
	s_add_i32 s4, s4, -1
	v_add_co_u32_e32 v10, vcc, -1, v10
	v_addc_co_u32_e32 v11, vcc, -1, v11, vcc
	s_cmp_gt_u32 s10, 1
	s_mov_b32 s10, s11
	v_fma_f64 v[14:15], v[2:3], v[14:15], v[16:17]
	s_cbranch_scc0 .LBB0_42
.LBB0_31:                               ; =>This Loop Header: Depth=1
                                        ;     Child Loop BB0_34 Depth 2
                                        ;     Child Loop BB0_38 Depth 2
	s_add_i32 s11, s10, -1
	s_lshl_b32 s12, s11, 2
	v_mov_b32_e32 v12, s12
	buffer_load_dword v16, v12, s[0:3], 0 offen
	s_min_i32 s12, s17, s4
	s_min_i32 s13, s17, s11
	s_and_b32 s18, s11, 15
	s_cmp_lg_u32 s18, 15
	s_waitcnt vmcnt(0)
	v_cvt_f64_f32_e32 v[16:17], v16
	v_mul_f64 v[16:17], v[14:15], v[16:17]
	v_mul_f64 v[16:17], v[8:9], v[16:17]
	v_cvt_f32_f64_e32 v16, v[16:17]
	v_sub_f32_e32 v16, 1.0, v16
	buffer_store_dword v16, v12, s[0:3], 0 offen
	s_cbranch_scc1 .LBB0_36
; %bb.32:                               ;   in Loop: Header=BB0_31 Depth=1
	s_lshr_b32 s18, s11, 1
	s_and_b32 s18, s18, 0x7ffffff8
	v_mov_b32_e32 v16, 0x220
	v_add_u32_e32 v12, s18, v16
	buffer_load_dword v16, v12, s[0:3], 0 offen
	buffer_load_dword v17, v12, s[0:3], 0 offen offset:4
	s_cmp_lt_i32 s13, 1
	s_cbranch_scc1 .LBB0_35
; %bb.33:                               ;   in Loop: Header=BB0_31 Depth=1
	s_movk_i32 s18, 0x230
	s_mov_b32 s19, s12
.LBB0_34:                               ;   Parent Loop BB0_31 Depth=1
                                        ; =>  This Inner Loop Header: Depth=2
	v_mov_b32_e32 v12, s18
	buffer_load_dword v18, v12, s[0:3], 0 offen
	buffer_load_dword v19, v12, s[0:3], 0 offen offset:4
	s_add_i32 s18, s18, 8
	s_add_i32 s19, s19, -1
	s_cmp_eq_u32 s19, 0
	s_waitcnt vmcnt(0)
	v_mul_f64 v[18:19], v[16:17], v[18:19]
	buffer_store_dword v18, v12, s[0:3], 0 offen
	buffer_store_dword v19, v12, s[0:3], 0 offen offset:4
	s_cbranch_scc0 .LBB0_34
.LBB0_35:                               ;   in Loop: Header=BB0_31 Depth=1
	s_waitcnt vmcnt(0)
	v_mul_f64 v[14:15], v[14:15], v[16:17]
.LBB0_36:                               ;   in Loop: Header=BB0_31 Depth=1
	s_cmp_lt_i32 s13, 1
	s_cbranch_scc1 .LBB0_40
; %bb.37:                               ;   in Loop: Header=BB0_31 Depth=1
	v_add_co_u32_e32 v16, vcc, s11, v0
	v_addc_co_u32_e32 v17, vcc, 0, v1, vcc
	global_load_ubyte v12, v[16:17], off
	v_mul_f64 v[18:19], s[14:15], v[14:15]
	s_lshl_b32 s13, s12, 3
	v_mov_b32_e32 v16, 0
	v_mov_b32_e32 v21, v11
	s_add_i32 s13, s5, s13
	s_movk_i32 s18, 0x230
	v_mov_b32_e32 v17, 0
	v_mov_b32_e32 v20, v10
	s_waitcnt vmcnt(0)
	v_mul_lo_u32 v22, s16, v12
.LBB0_38:                               ;   Parent Loop BB0_31 Depth=1
                                        ; =>  This Inner Loop Header: Depth=2
	global_load_ubyte v12, v[20:21], off
	v_mov_b32_e32 v27, s7
	v_mov_b32_e32 v29, s18
	buffer_load_dword v23, v29, s[0:3], 0 offen
	buffer_load_dword v24, v29, s[0:3], 0 offen offset:4
	s_add_i32 s18, s18, 8
	s_add_i32 s12, s12, -1
	s_waitcnt vmcnt(2)
	v_add_u32_e32 v12, v22, v12
	v_lshlrev_b64 v[25:26], 3, v[12:13]
	v_mov_b32_e32 v12, s13
	v_add_co_u32_e32 v25, vcc, s6, v25
	v_addc_co_u32_e32 v26, vcc, v27, v26, vcc
	global_load_dwordx2 v[25:26], v[25:26], off
	s_nop 0
	buffer_load_dword v27, v12, s[0:3], 0 offen
	buffer_load_dword v28, v12, s[0:3], 0 offen offset:4
	s_add_i32 s13, s13, -8
	v_add_co_u32_e32 v20, vcc, -1, v20
	v_addc_co_u32_e32 v21, vcc, -1, v21, vcc
	s_cmp_eq_u32 s12, 0
	s_waitcnt vmcnt(2)
	v_mul_f64 v[23:24], v[23:24], v[25:26]
	v_fma_f64 v[25:26], v[4:5], v[23:24], v[18:19]
	s_waitcnt vmcnt(0)
	v_fma_f64 v[16:17], v[27:28], v[23:24], v[16:17]
	buffer_store_dword v25, v29, s[0:3], 0 offen
	buffer_store_dword v26, v29, s[0:3], 0 offen offset:4
	s_cbranch_scc0 .LBB0_38
; %bb.39:                               ;   in Loop: Header=BB0_31 Depth=1
	v_mov_b32_e32 v18, 0
	v_mov_b32_e32 v19, 0x3ff00000
	s_cmp_le_i32 s11, s17
	s_cbranch_scc0 .LBB0_30
	s_branch .LBB0_41
.LBB0_40:                               ;   in Loop: Header=BB0_31 Depth=1
	v_mov_b32_e32 v16, 0
	v_mov_b32_e32 v17, 0
	;; [unrolled: 1-line block ×4, first 2 shown]
	s_cmp_le_i32 s11, s17
	s_cbranch_scc0 .LBB0_30
.LBB0_41:                               ;   in Loop: Header=BB0_31 Depth=1
	s_sub_i32 s12, s17, s10
	s_lshl_b32 s12, s12, 3
	v_mov_b32_e32 v18, 0x90
	v_add_u32_e32 v12, s12, v18
	buffer_load_dword v18, v12, s[0:3], 0 offen offset:8
	buffer_load_dword v19, v12, s[0:3], 0 offen offset:12
	s_waitcnt vmcnt(0)
	v_mul_f64 v[18:19], v[6:7], v[18:19]
	s_branch .LBB0_30
.LBB0_42:
	s_mov_b32 s6, 0
	s_branch .LBB0_44
.LBB0_43:                               ;   in Loop: Header=BB0_44 Depth=1
	s_or_b64 exec, exec, s[4:5]
	s_add_i32 s6, s6, 4
	s_add_i32 s16, s16, -1
	v_add_co_u32_e32 v0, vcc, 1, v0
	s_cmp_lg_u32 s16, 0
	v_addc_co_u32_e32 v1, vcc, 0, v1, vcc
	s_cbranch_scc0 .LBB0_46
.LBB0_44:                               ; =>This Inner Loop Header: Depth=1
	v_mov_b32_e32 v2, s6
	buffer_load_dword v2, v2, s[0:3], 0 offen
	s_waitcnt vmcnt(0)
	v_cmp_le_f32_e32 vcc, 0.5, v2
	s_and_saveexec_b64 s[4:5], vcc
	s_cbranch_execz .LBB0_43
; %bb.45:                               ;   in Loop: Header=BB0_44 Depth=1
	global_load_ubyte v2, v[0:1], off
	v_mov_b32_e32 v3, s9
	s_waitcnt vmcnt(0)
	v_and_b32_e32 v2, 0xffff, v2
	v_add_co_u32_e32 v2, vcc, s8, v2
	v_addc_co_u32_e32 v3, vcc, 0, v3, vcc
	global_load_ubyte v2, v[2:3], off
	s_waitcnt vmcnt(0)
	global_store_byte v[0:1], v2, off
	s_branch .LBB0_43
.LBB0_46:
	s_endpgm
	.section	.rodata,"a",@progbits
	.p2align	6, 0x0
	.amdhsa_kernel _Z13maskSequencesPhPKdPKhiiddddddi
		.amdhsa_group_segment_fixed_size 0
		.amdhsa_private_segment_fixed_size 976
		.amdhsa_kernarg_size 344
		.amdhsa_user_sgpr_count 6
		.amdhsa_user_sgpr_private_segment_buffer 1
		.amdhsa_user_sgpr_dispatch_ptr 0
		.amdhsa_user_sgpr_queue_ptr 0
		.amdhsa_user_sgpr_kernarg_segment_ptr 1
		.amdhsa_user_sgpr_dispatch_id 0
		.amdhsa_user_sgpr_flat_scratch_init 0
		.amdhsa_user_sgpr_private_segment_size 0
		.amdhsa_uses_dynamic_stack 0
		.amdhsa_system_sgpr_private_segment_wavefront_offset 1
		.amdhsa_system_sgpr_workgroup_id_x 1
		.amdhsa_system_sgpr_workgroup_id_y 0
		.amdhsa_system_sgpr_workgroup_id_z 0
		.amdhsa_system_sgpr_workgroup_info 0
		.amdhsa_system_vgpr_workitem_id 0
		.amdhsa_next_free_vgpr 30
		.amdhsa_next_free_sgpr 27
		.amdhsa_reserve_vcc 1
		.amdhsa_reserve_flat_scratch 0
		.amdhsa_float_round_mode_32 0
		.amdhsa_float_round_mode_16_64 0
		.amdhsa_float_denorm_mode_32 3
		.amdhsa_float_denorm_mode_16_64 3
		.amdhsa_dx10_clamp 1
		.amdhsa_ieee_mode 1
		.amdhsa_fp16_overflow 0
		.amdhsa_exception_fp_ieee_invalid_op 0
		.amdhsa_exception_fp_denorm_src 0
		.amdhsa_exception_fp_ieee_div_zero 0
		.amdhsa_exception_fp_ieee_overflow 0
		.amdhsa_exception_fp_ieee_underflow 0
		.amdhsa_exception_fp_ieee_inexact 0
		.amdhsa_exception_int_div_zero 0
	.end_amdhsa_kernel
	.text
.Lfunc_end0:
	.size	_Z13maskSequencesPhPKdPKhiiddddddi, .Lfunc_end0-_Z13maskSequencesPhPKdPKhiiddddddi
                                        ; -- End function
	.set _Z13maskSequencesPhPKdPKhiiddddddi.num_vgpr, 30
	.set _Z13maskSequencesPhPKdPKhiiddddddi.num_agpr, 0
	.set _Z13maskSequencesPhPKdPKhiiddddddi.numbered_sgpr, 27
	.set _Z13maskSequencesPhPKdPKhiiddddddi.num_named_barrier, 0
	.set _Z13maskSequencesPhPKdPKhiiddddddi.private_seg_size, 976
	.set _Z13maskSequencesPhPKdPKhiiddddddi.uses_vcc, 1
	.set _Z13maskSequencesPhPKdPKhiiddddddi.uses_flat_scratch, 0
	.set _Z13maskSequencesPhPKdPKhiiddddddi.has_dyn_sized_stack, 0
	.set _Z13maskSequencesPhPKdPKhiiddddddi.has_recursion, 0
	.set _Z13maskSequencesPhPKdPKhiiddddddi.has_indirect_call, 0
	.section	.AMDGPU.csdata,"",@progbits
; Kernel info:
; codeLenInByte = 4020
; TotalNumSgprs: 31
; NumVgprs: 30
; ScratchSize: 976
; MemoryBound: 0
; FloatMode: 240
; IeeeMode: 1
; LDSByteSize: 0 bytes/workgroup (compile time only)
; SGPRBlocks: 3
; VGPRBlocks: 7
; NumSGPRsForWavesPerEU: 31
; NumVGPRsForWavesPerEU: 30
; Occupancy: 8
; WaveLimiterHint : 1
; COMPUTE_PGM_RSRC2:SCRATCH_EN: 1
; COMPUTE_PGM_RSRC2:USER_SGPR: 6
; COMPUTE_PGM_RSRC2:TRAP_HANDLER: 0
; COMPUTE_PGM_RSRC2:TGID_X_EN: 1
; COMPUTE_PGM_RSRC2:TGID_Y_EN: 0
; COMPUTE_PGM_RSRC2:TGID_Z_EN: 0
; COMPUTE_PGM_RSRC2:TIDIG_COMP_CNT: 0
	.section	.AMDGPU.gpr_maximums,"",@progbits
	.set amdgpu.max_num_vgpr, 0
	.set amdgpu.max_num_agpr, 0
	.set amdgpu.max_num_sgpr, 0
	.section	.AMDGPU.csdata,"",@progbits
	.protected	_ZN7Masking8bit_maskE   ; @_ZN7Masking8bit_maskE
	.type	_ZN7Masking8bit_maskE,@object
	.section	.rodata,"a",@progbits
	.globl	_ZN7Masking8bit_maskE
_ZN7Masking8bit_maskE:
	.byte	128                             ; 0x80
	.size	_ZN7Masking8bit_maskE, 1

	.type	__hip_cuid_b6e73a6549df00cf,@object ; @__hip_cuid_b6e73a6549df00cf
	.section	.bss,"aw",@nobits
	.globl	__hip_cuid_b6e73a6549df00cf
__hip_cuid_b6e73a6549df00cf:
	.byte	0                               ; 0x0
	.size	__hip_cuid_b6e73a6549df00cf, 1

	.ident	"AMD clang version 22.0.0git (https://github.com/RadeonOpenCompute/llvm-project roc-7.2.4 26084 f58b06dce1f9c15707c5f808fd002e18c2accf7e)"
	.section	".note.GNU-stack","",@progbits
	.addrsig
	.addrsig_sym __hip_cuid_b6e73a6549df00cf
	.amdgpu_metadata
---
amdhsa.kernels:
  - .args:
      - .address_space:  global
        .offset:         0
        .size:           8
        .value_kind:     global_buffer
      - .actual_access:  read_only
        .address_space:  global
        .offset:         8
        .size:           8
        .value_kind:     global_buffer
      - .actual_access:  read_only
        .address_space:  global
        .offset:         16
        .size:           8
        .value_kind:     global_buffer
      - .offset:         24
        .size:           4
        .value_kind:     by_value
      - .offset:         28
        .size:           4
        .value_kind:     by_value
      - .offset:         32
        .size:           8
        .value_kind:     by_value
      - .offset:         40
        .size:           8
        .value_kind:     by_value
      - .offset:         48
        .size:           8
        .value_kind:     by_value
      - .offset:         56
        .size:           8
        .value_kind:     by_value
      - .offset:         64
        .size:           8
        .value_kind:     by_value
      - .offset:         72
        .size:           8
        .value_kind:     by_value
      - .offset:         80
        .size:           4
        .value_kind:     by_value
      - .offset:         88
        .size:           4
        .value_kind:     hidden_block_count_x
      - .offset:         92
        .size:           4
        .value_kind:     hidden_block_count_y
      - .offset:         96
        .size:           4
        .value_kind:     hidden_block_count_z
      - .offset:         100
        .size:           2
        .value_kind:     hidden_group_size_x
      - .offset:         102
        .size:           2
        .value_kind:     hidden_group_size_y
      - .offset:         104
        .size:           2
        .value_kind:     hidden_group_size_z
      - .offset:         106
        .size:           2
        .value_kind:     hidden_remainder_x
      - .offset:         108
        .size:           2
        .value_kind:     hidden_remainder_y
      - .offset:         110
        .size:           2
        .value_kind:     hidden_remainder_z
      - .offset:         128
        .size:           8
        .value_kind:     hidden_global_offset_x
      - .offset:         136
        .size:           8
        .value_kind:     hidden_global_offset_y
      - .offset:         144
        .size:           8
        .value_kind:     hidden_global_offset_z
      - .offset:         152
        .size:           2
        .value_kind:     hidden_grid_dims
    .group_segment_fixed_size: 0
    .kernarg_segment_align: 8
    .kernarg_segment_size: 344
    .language:       OpenCL C
    .language_version:
      - 2
      - 0
    .max_flat_workgroup_size: 1024
    .name:           _Z13maskSequencesPhPKdPKhiiddddddi
    .private_segment_fixed_size: 976
    .sgpr_count:     31
    .sgpr_spill_count: 0
    .symbol:         _Z13maskSequencesPhPKdPKhiiddddddi.kd
    .uniform_work_group_size: 1
    .uses_dynamic_stack: false
    .vgpr_count:     30
    .vgpr_spill_count: 0
    .wavefront_size: 64
amdhsa.target:   amdgcn-amd-amdhsa--gfx906
amdhsa.version:
  - 1
  - 2
...

	.end_amdgpu_metadata
